;; amdgpu-corpus repo=ROCm/rocFFT kind=compiled arch=gfx906 opt=O3
	.text
	.amdgcn_target "amdgcn-amd-amdhsa--gfx906"
	.amdhsa_code_object_version 6
	.protected	fft_rtc_fwd_len320_factors_10_4_4_2_wgs_64_tpt_16_halfLds_half_ip_CI_unitstride_sbrr_dirReg ; -- Begin function fft_rtc_fwd_len320_factors_10_4_4_2_wgs_64_tpt_16_halfLds_half_ip_CI_unitstride_sbrr_dirReg
	.globl	fft_rtc_fwd_len320_factors_10_4_4_2_wgs_64_tpt_16_halfLds_half_ip_CI_unitstride_sbrr_dirReg
	.p2align	8
	.type	fft_rtc_fwd_len320_factors_10_4_4_2_wgs_64_tpt_16_halfLds_half_ip_CI_unitstride_sbrr_dirReg,@function
fft_rtc_fwd_len320_factors_10_4_4_2_wgs_64_tpt_16_halfLds_half_ip_CI_unitstride_sbrr_dirReg: ; @fft_rtc_fwd_len320_factors_10_4_4_2_wgs_64_tpt_16_halfLds_half_ip_CI_unitstride_sbrr_dirReg
; %bb.0:
	s_load_dwordx2 s[2:3], s[4:5], 0x50
	s_load_dwordx4 s[8:11], s[4:5], 0x0
	s_load_dwordx2 s[12:13], s[4:5], 0x18
	v_lshrrev_b32_e32 v17, 4, v0
	v_mov_b32_e32 v3, 0
	v_mov_b32_e32 v1, 0
	s_waitcnt lgkmcnt(0)
	v_cmp_lt_u64_e64 s[0:1], s[10:11], 2
	v_lshl_or_b32 v5, s6, 2, v17
	v_mov_b32_e32 v6, v3
	s_and_b64 vcc, exec, s[0:1]
	v_mov_b32_e32 v2, 0
	s_cbranch_vccnz .LBB0_8
; %bb.1:
	s_load_dwordx2 s[0:1], s[4:5], 0x10
	s_add_u32 s6, s12, 8
	s_addc_u32 s7, s13, 0
	v_mov_b32_e32 v1, 0
	v_mov_b32_e32 v2, 0
	s_waitcnt lgkmcnt(0)
	s_add_u32 s14, s0, 8
	s_addc_u32 s15, s1, 0
	s_mov_b64 s[16:17], 1
.LBB0_2:                                ; =>This Inner Loop Header: Depth=1
	s_load_dwordx2 s[18:19], s[14:15], 0x0
                                        ; implicit-def: $vgpr7_vgpr8
	s_waitcnt lgkmcnt(0)
	v_or_b32_e32 v4, s19, v6
	v_cmp_ne_u64_e32 vcc, 0, v[3:4]
	s_and_saveexec_b64 s[0:1], vcc
	s_xor_b64 s[20:21], exec, s[0:1]
	s_cbranch_execz .LBB0_4
; %bb.3:                                ;   in Loop: Header=BB0_2 Depth=1
	v_cvt_f32_u32_e32 v4, s18
	v_cvt_f32_u32_e32 v7, s19
	s_sub_u32 s0, 0, s18
	s_subb_u32 s1, 0, s19
	v_mac_f32_e32 v4, 0x4f800000, v7
	v_rcp_f32_e32 v4, v4
	v_mul_f32_e32 v4, 0x5f7ffffc, v4
	v_mul_f32_e32 v7, 0x2f800000, v4
	v_trunc_f32_e32 v7, v7
	v_mac_f32_e32 v4, 0xcf800000, v7
	v_cvt_u32_f32_e32 v7, v7
	v_cvt_u32_f32_e32 v4, v4
	v_mul_lo_u32 v8, s0, v7
	v_mul_hi_u32 v9, s0, v4
	v_mul_lo_u32 v11, s1, v4
	v_mul_lo_u32 v10, s0, v4
	v_add_u32_e32 v8, v9, v8
	v_add_u32_e32 v8, v8, v11
	v_mul_hi_u32 v9, v4, v10
	v_mul_lo_u32 v11, v4, v8
	v_mul_hi_u32 v13, v4, v8
	v_mul_hi_u32 v12, v7, v10
	v_mul_lo_u32 v10, v7, v10
	v_mul_hi_u32 v14, v7, v8
	v_add_co_u32_e32 v9, vcc, v9, v11
	v_addc_co_u32_e32 v11, vcc, 0, v13, vcc
	v_mul_lo_u32 v8, v7, v8
	v_add_co_u32_e32 v9, vcc, v9, v10
	v_addc_co_u32_e32 v9, vcc, v11, v12, vcc
	v_addc_co_u32_e32 v10, vcc, 0, v14, vcc
	v_add_co_u32_e32 v8, vcc, v9, v8
	v_addc_co_u32_e32 v9, vcc, 0, v10, vcc
	v_add_co_u32_e32 v4, vcc, v4, v8
	v_addc_co_u32_e32 v7, vcc, v7, v9, vcc
	v_mul_lo_u32 v8, s0, v7
	v_mul_hi_u32 v9, s0, v4
	v_mul_lo_u32 v10, s1, v4
	v_mul_lo_u32 v11, s0, v4
	v_add_u32_e32 v8, v9, v8
	v_add_u32_e32 v8, v8, v10
	v_mul_lo_u32 v12, v4, v8
	v_mul_hi_u32 v13, v4, v11
	v_mul_hi_u32 v14, v4, v8
	;; [unrolled: 1-line block ×3, first 2 shown]
	v_mul_lo_u32 v11, v7, v11
	v_mul_hi_u32 v9, v7, v8
	v_add_co_u32_e32 v12, vcc, v13, v12
	v_addc_co_u32_e32 v13, vcc, 0, v14, vcc
	v_mul_lo_u32 v8, v7, v8
	v_add_co_u32_e32 v11, vcc, v12, v11
	v_addc_co_u32_e32 v10, vcc, v13, v10, vcc
	v_addc_co_u32_e32 v9, vcc, 0, v9, vcc
	v_add_co_u32_e32 v8, vcc, v10, v8
	v_addc_co_u32_e32 v9, vcc, 0, v9, vcc
	v_add_co_u32_e32 v4, vcc, v4, v8
	v_addc_co_u32_e32 v9, vcc, v7, v9, vcc
	v_mad_u64_u32 v[7:8], s[0:1], v5, v9, 0
	v_mul_hi_u32 v10, v5, v4
	v_add_co_u32_e32 v11, vcc, v10, v7
	v_addc_co_u32_e32 v12, vcc, 0, v8, vcc
	v_mad_u64_u32 v[7:8], s[0:1], v6, v4, 0
	v_mad_u64_u32 v[9:10], s[0:1], v6, v9, 0
	v_add_co_u32_e32 v4, vcc, v11, v7
	v_addc_co_u32_e32 v4, vcc, v12, v8, vcc
	v_addc_co_u32_e32 v7, vcc, 0, v10, vcc
	v_add_co_u32_e32 v4, vcc, v4, v9
	v_addc_co_u32_e32 v9, vcc, 0, v7, vcc
	v_mul_lo_u32 v10, s19, v4
	v_mul_lo_u32 v11, s18, v9
	v_mad_u64_u32 v[7:8], s[0:1], s18, v4, 0
	v_add3_u32 v8, v8, v11, v10
	v_sub_u32_e32 v10, v6, v8
	v_mov_b32_e32 v11, s19
	v_sub_co_u32_e32 v7, vcc, v5, v7
	v_subb_co_u32_e64 v10, s[0:1], v10, v11, vcc
	v_subrev_co_u32_e64 v11, s[0:1], s18, v7
	v_subbrev_co_u32_e64 v10, s[0:1], 0, v10, s[0:1]
	v_cmp_le_u32_e64 s[0:1], s19, v10
	v_cndmask_b32_e64 v12, 0, -1, s[0:1]
	v_cmp_le_u32_e64 s[0:1], s18, v11
	v_cndmask_b32_e64 v11, 0, -1, s[0:1]
	v_cmp_eq_u32_e64 s[0:1], s19, v10
	v_cndmask_b32_e64 v10, v12, v11, s[0:1]
	v_add_co_u32_e64 v11, s[0:1], 2, v4
	v_addc_co_u32_e64 v12, s[0:1], 0, v9, s[0:1]
	v_add_co_u32_e64 v13, s[0:1], 1, v4
	v_addc_co_u32_e64 v14, s[0:1], 0, v9, s[0:1]
	v_subb_co_u32_e32 v8, vcc, v6, v8, vcc
	v_cmp_ne_u32_e64 s[0:1], 0, v10
	v_cmp_le_u32_e32 vcc, s19, v8
	v_cndmask_b32_e64 v10, v14, v12, s[0:1]
	v_cndmask_b32_e64 v12, 0, -1, vcc
	v_cmp_le_u32_e32 vcc, s18, v7
	v_cndmask_b32_e64 v7, 0, -1, vcc
	v_cmp_eq_u32_e32 vcc, s19, v8
	v_cndmask_b32_e32 v7, v12, v7, vcc
	v_cmp_ne_u32_e32 vcc, 0, v7
	v_cndmask_b32_e64 v7, v13, v11, s[0:1]
	v_cndmask_b32_e32 v8, v9, v10, vcc
	v_cndmask_b32_e32 v7, v4, v7, vcc
.LBB0_4:                                ;   in Loop: Header=BB0_2 Depth=1
	s_andn2_saveexec_b64 s[0:1], s[20:21]
	s_cbranch_execz .LBB0_6
; %bb.5:                                ;   in Loop: Header=BB0_2 Depth=1
	v_cvt_f32_u32_e32 v4, s18
	s_sub_i32 s20, 0, s18
	v_rcp_iflag_f32_e32 v4, v4
	v_mul_f32_e32 v4, 0x4f7ffffe, v4
	v_cvt_u32_f32_e32 v4, v4
	v_mul_lo_u32 v7, s20, v4
	v_mul_hi_u32 v7, v4, v7
	v_add_u32_e32 v4, v4, v7
	v_mul_hi_u32 v4, v5, v4
	v_mul_lo_u32 v7, v4, s18
	v_add_u32_e32 v8, 1, v4
	v_sub_u32_e32 v7, v5, v7
	v_subrev_u32_e32 v9, s18, v7
	v_cmp_le_u32_e32 vcc, s18, v7
	v_cndmask_b32_e32 v7, v7, v9, vcc
	v_cndmask_b32_e32 v4, v4, v8, vcc
	v_add_u32_e32 v8, 1, v4
	v_cmp_le_u32_e32 vcc, s18, v7
	v_cndmask_b32_e32 v7, v4, v8, vcc
	v_mov_b32_e32 v8, v3
.LBB0_6:                                ;   in Loop: Header=BB0_2 Depth=1
	s_or_b64 exec, exec, s[0:1]
	v_mul_lo_u32 v4, v8, s18
	v_mul_lo_u32 v11, v7, s19
	v_mad_u64_u32 v[9:10], s[0:1], v7, s18, 0
	s_load_dwordx2 s[0:1], s[6:7], 0x0
	s_add_u32 s16, s16, 1
	v_add3_u32 v4, v10, v11, v4
	v_sub_co_u32_e32 v5, vcc, v5, v9
	v_subb_co_u32_e32 v4, vcc, v6, v4, vcc
	s_waitcnt lgkmcnt(0)
	v_mul_lo_u32 v4, s0, v4
	v_mul_lo_u32 v6, s1, v5
	v_mad_u64_u32 v[1:2], s[0:1], s0, v5, v[1:2]
	s_addc_u32 s17, s17, 0
	s_add_u32 s6, s6, 8
	v_add3_u32 v2, v6, v2, v4
	v_mov_b32_e32 v4, s10
	v_mov_b32_e32 v5, s11
	s_addc_u32 s7, s7, 0
	v_cmp_ge_u64_e32 vcc, s[16:17], v[4:5]
	s_add_u32 s14, s14, 8
	s_addc_u32 s15, s15, 0
	s_cbranch_vccnz .LBB0_9
; %bb.7:                                ;   in Loop: Header=BB0_2 Depth=1
	v_mov_b32_e32 v5, v7
	v_mov_b32_e32 v6, v8
	s_branch .LBB0_2
.LBB0_8:
	v_mov_b32_e32 v8, v6
	v_mov_b32_e32 v7, v5
.LBB0_9:
	s_lshl_b64 s[0:1], s[10:11], 3
	s_add_u32 s0, s12, s0
	s_addc_u32 s1, s13, s1
	s_load_dwordx2 s[6:7], s[0:1], 0x0
	s_load_dwordx2 s[10:11], s[4:5], 0x20
	v_and_b32_e32 v3, 15, v0
	v_or_b32_e32 v6, 48, v3
                                        ; implicit-def: $vgpr9
                                        ; implicit-def: $vgpr10
                                        ; implicit-def: $vgpr11
                                        ; implicit-def: $vgpr12
                                        ; implicit-def: $vgpr13
	s_waitcnt lgkmcnt(0)
	v_mul_lo_u32 v4, s6, v8
	v_mul_lo_u32 v5, s7, v7
	v_mad_u64_u32 v[14:15], s[0:1], s6, v7, v[1:2]
	v_cmp_gt_u64_e32 vcc, s[10:11], v[7:8]
	v_cmp_le_u64_e64 s[0:1], s[10:11], v[7:8]
	v_add3_u32 v15, v5, v15, v4
	v_or_b32_e32 v2, 16, v3
	v_or_b32_e32 v4, 32, v3
	;; [unrolled: 1-line block ×3, first 2 shown]
	s_and_saveexec_b64 s[4:5], s[0:1]
	s_xor_b64 s[0:1], exec, s[4:5]
; %bb.10:
	v_or_b32_e32 v2, 16, v3
	v_or_b32_e32 v9, 0x50, v3
	;; [unrolled: 1-line block ×9, first 2 shown]
; %bb.11:
	s_or_saveexec_b64 s[4:5], s[0:1]
	v_lshlrev_b64 v[0:1], 2, v[14:15]
	v_lshlrev_b32_e32 v16, 2, v3
                                        ; implicit-def: $vgpr25
                                        ; implicit-def: $vgpr18
                                        ; implicit-def: $vgpr27
                                        ; implicit-def: $vgpr23
                                        ; implicit-def: $vgpr38
                                        ; implicit-def: $vgpr19
                                        ; implicit-def: $vgpr39
                                        ; implicit-def: $vgpr20
                                        ; implicit-def: $vgpr41
                                        ; implicit-def: $vgpr21
                                        ; implicit-def: $vgpr32
                                        ; implicit-def: $vgpr44
                                        ; implicit-def: $vgpr33
                                        ; implicit-def: $vgpr28
                                        ; implicit-def: $vgpr34
                                        ; implicit-def: $vgpr31
                                        ; implicit-def: $vgpr35
                                        ; implicit-def: $vgpr30
                                        ; implicit-def: $vgpr37
                                        ; implicit-def: $vgpr36
                                        ; implicit-def: $vgpr15
                                        ; implicit-def: $vgpr7
                                        ; implicit-def: $vgpr14
                                        ; implicit-def: $vgpr29
                                        ; implicit-def: $vgpr43
                                        ; implicit-def: $vgpr40
                                        ; implicit-def: $vgpr24
                                        ; implicit-def: $vgpr26
                                        ; implicit-def: $vgpr42
                                        ; implicit-def: $vgpr22
	s_xor_b64 exec, exec, s[4:5]
	s_cbranch_execz .LBB0_13
; %bb.12:
	v_mov_b32_e32 v5, s3
	v_add_co_u32_e64 v7, s[0:1], s2, v0
	v_addc_co_u32_e64 v5, s[0:1], v5, v1, s[0:1]
	v_add_co_u32_e64 v9, s[0:1], v7, v16
	v_addc_co_u32_e64 v10, s[0:1], 0, v5, s[0:1]
	global_load_dword v18, v[9:10], off
	global_load_dword v19, v[9:10], off offset:512
	global_load_dword v20, v[9:10], off offset:768
	;; [unrolled: 1-line block ×19, first 2 shown]
	v_or_b32_e32 v10, 0x60, v3
	v_or_b32_e32 v12, 0x80, v3
	;; [unrolled: 1-line block ×5, first 2 shown]
	s_waitcnt vmcnt(19)
	v_lshrrev_b32_e32 v25, 16, v18
	s_waitcnt vmcnt(18)
	v_lshrrev_b32_e32 v38, 16, v19
	;; [unrolled: 2-line block ×10, first 2 shown]
.LBB0_13:
	s_or_b64 exec, exec, s[4:5]
	v_sub_f16_e32 v5, v23, v19
	v_sub_f16_e32 v45, v21, v20
	v_add_f16_e32 v5, v5, v45
	v_add_f16_e32 v45, v19, v20
	v_fma_f16 v45, v45, -0.5, v18
	s_movk_i32 s0, 0x3b9c
	v_sub_f16_e32 v46, v27, v41
	s_mov_b32 s6, 0xbb9c
	s_movk_i32 s1, 0x38b4
	v_fma_f16 v47, v46, s0, v45
	v_sub_f16_e32 v48, v38, v39
	v_fma_f16 v45, v46, s6, v45
	s_mov_b32 s5, 0xb8b4
	v_fma_f16 v47, v48, s1, v47
	s_movk_i32 s4, 0x34f2
	v_fma_f16 v45, v48, s5, v45
	v_fma_f16 v47, v5, s4, v47
	;; [unrolled: 1-line block ×3, first 2 shown]
	v_pk_add_f16 v45, v24, v40 neg_lo:[0,1] neg_hi:[0,1]
	s_waitcnt vmcnt(0)
	v_pk_add_f16 v49, v42, v26 neg_lo:[0,1] neg_hi:[0,1]
	v_pk_add_f16 v45, v45, v49
	v_add_f16_e32 v49, v40, v26
	v_pk_add_f16 v50, v24, v42 neg_lo:[0,1] neg_hi:[0,1]
	v_fma_f16 v49, v49, -0.5, v22
	v_lshrrev_b32_e32 v51, 16, v50
	v_fma_f16 v52, v51, s0, v49
	v_fma_f16 v49, v51, s6, v49
	s_mov_b32 s7, 0xffff
	v_pk_add_f16 v51, v40, v26 neg_lo:[0,1] neg_hi:[0,1]
	v_bfi_b32 v45, s7, v45, v51
	s_mov_b32 s11, 0x38b434f2
	v_pk_mul_f16 v45, v45, s11
	v_add_f16_sdwa v52, v45, v52 dst_sel:DWORD dst_unused:UNUSED_PAD src0_sel:WORD_1 src1_sel:DWORD
	v_sub_f16_sdwa v49, v49, v45 dst_sel:DWORD dst_unused:UNUSED_PAD src0_sel:DWORD src1_sel:WORD_1
	v_add_f16_e32 v52, v45, v52
	v_add_f16_e32 v49, v45, v49
	v_sub_f16_sdwa v45, v24, v40 dst_sel:DWORD dst_unused:UNUSED_PAD src0_sel:WORD_1 src1_sel:WORD_1
	v_sub_f16_sdwa v53, v42, v26 dst_sel:DWORD dst_unused:UNUSED_PAD src0_sel:WORD_1 src1_sel:WORD_1
	v_add_f16_e32 v45, v45, v53
	v_lshrrev_b32_e32 v53, 16, v22
	v_add_f16_sdwa v54, v40, v26 dst_sel:DWORD dst_unused:UNUSED_PAD src0_sel:WORD_1 src1_sel:WORD_1
	v_fma_f16 v54, v54, -0.5, v53
	v_fma_f16 v55, v50, s6, v54
	v_fma_f16 v54, v50, s0, v54
	;; [unrolled: 1-line block ×6, first 2 shown]
	v_add_f16_e32 v45, v18, v23
	v_add_f16_e32 v56, v22, v24
	;; [unrolled: 1-line block ×9, first 2 shown]
	v_sub_f16_e32 v45, v45, v56
	s_movk_i32 s10, 0x3a79
	v_mul_f16_e32 v56, 0x38b4, v55
	v_fma_f16 v56, v52, s10, v56
	v_add_f16_e32 v58, v47, v56
	v_sub_f16_e32 v47, v47, v56
	v_mul_f16_e32 v56, 0x3a79, v49
	v_fma_f16 v56, v54, s1, -v56
	v_add_f16_e32 v59, v5, v56
	v_sub_f16_e32 v56, v5, v56
	v_sub_f16_e32 v5, v28, v31
	;; [unrolled: 1-line block ×3, first 2 shown]
	v_add_f16_e32 v60, v5, v60
	v_sub_f16_e32 v5, v31, v28
	v_sub_f16_e32 v61, v30, v36
	v_add_f16_e32 v5, v5, v61
	v_add_f16_e32 v61, v28, v36
	v_fma_f16 v61, v61, -0.5, v44
	v_sub_f16_e32 v63, v34, v35
	v_sub_f16_e32 v62, v33, v37
	v_fma_f16 v64, v63, s6, v61
	v_fma_f16 v61, v63, s0, v61
	;; [unrolled: 1-line block ×6, first 2 shown]
	v_pk_add_f16 v5, v7, v15 neg_lo:[0,1] neg_hi:[0,1]
	v_pk_add_f16 v65, v29, v14 neg_lo:[0,1] neg_hi:[0,1]
	v_pk_add_f16 v65, v5, v65
	v_sub_f16_sdwa v5, v7, v15 dst_sel:DWORD dst_unused:UNUSED_PAD src0_sel:WORD_1 src1_sel:WORD_1
	v_sub_f16_sdwa v66, v29, v14 dst_sel:DWORD dst_unused:UNUSED_PAD src0_sel:WORD_1 src1_sel:WORD_1
	v_add_f16_e32 v66, v5, v66
	v_mul_u32_u24_e32 v5, 0x140, v17
	v_lshlrev_b32_e32 v5, 1, v5
	v_pack_b32_f16 v57, v57, v58
	v_mul_u32_u24_e32 v17, 10, v3
	v_add_u32_e32 v58, 0, v5
	v_lshl_add_u32 v67, v17, 1, v58
	v_pack_b32_f16 v17, v59, v45
	ds_write_b32 v67, v57
	ds_write_b32 v67, v17 offset:8
	ds_write_b16 v67, v47 offset:12
	ds_write_b16 v67, v56 offset:18
	v_pk_add_f16 v17, v15, v7 neg_lo:[0,1] neg_hi:[0,1]
	v_pk_add_f16 v45, v14, v29 neg_lo:[0,1] neg_hi:[0,1]
	v_pk_add_f16 v17, v17, v45
	v_pk_add_f16 v45, v7, v29
	v_pk_add_f16 v47, v15, v14 neg_lo:[0,1] neg_hi:[0,1]
	v_pk_fma_f16 v45, v45, 0.5, v43 op_sel_hi:[1,0,1] neg_lo:[1,0,0] neg_hi:[1,0,0]
	v_pk_mul_f16 v56, v47, s0 op_sel_hi:[1,0]
	v_pk_add_f16 v57, v56, v45 op_sel:[1,0] op_sel_hi:[0,1]
	v_pk_add_f16 v45, v45, v56 op_sel:[0,1] op_sel_hi:[1,0] neg_lo:[0,1] neg_hi:[0,1]
	v_pk_add_f16 v56, v7, v29 neg_lo:[0,1] neg_hi:[0,1]
	v_pk_mul_f16 v59, v56, s1 op_sel_hi:[1,0]
	v_pk_add_f16 v57, v57, v59 op_sel:[0,1] op_sel_hi:[1,0] neg_lo:[0,1] neg_hi:[0,1]
	v_pk_add_f16 v45, v59, v45 op_sel:[1,0] op_sel_hi:[0,1]
	v_pk_fma_f16 v57, v17, s4, v57 op_sel_hi:[1,0,1]
	v_pk_fma_f16 v59, v17, s4, v45 op_sel_hi:[1,0,1]
	v_mul_f16_e32 v17, 0x34f2, v59
	v_lshrrev_b32_e32 v45, 16, v57
	v_fma_f16 v17, v45, s0, v17
	v_mul_f16_e32 v45, 0x34f2, v57
	v_lshrrev_b32_e32 v68, 16, v59
	v_fma_f16 v45, v68, s0, -v45
	v_add_f16_e32 v72, v15, v14
	v_add_f16_e32 v68, v64, v17
	;; [unrolled: 1-line block ×4, first 2 shown]
	v_fma_f16 v72, v72, -0.5, v43
	v_lshrrev_b32_e32 v75, 16, v43
	v_add_f16_sdwa v43, v15, v14 dst_sel:DWORD dst_unused:UNUSED_PAD src0_sel:WORD_1 src1_sel:WORD_1
	v_pack_b32_f16 v68, v68, v69
	v_add_f16_e32 v69, v31, v30
	v_fma_f16 v43, v43, -0.5, v75
	v_fma_f16 v69, v69, -0.5, v44
	v_bfi_b32 v65, s7, v65, v47
	v_lshrrev_b32_e32 v73, 16, v56
	v_fma_f16 v76, v56, s6, v43
	v_add_f16_e32 v44, v44, v28
	v_fma_f16 v70, v62, s0, v69
	v_pk_mul_f16 v65, v65, s11
	v_fma_f16 v74, v73, s0, v72
	v_fma_f16 v76, v47, s5, v76
	;; [unrolled: 1-line block ×3, first 2 shown]
	v_add_f16_e32 v44, v44, v31
	v_fma_f16 v70, v63, s1, v70
	v_add_f16_e32 v71, v71, v15
	v_add_f16_sdwa v74, v65, v74 dst_sel:DWORD dst_unused:UNUSED_PAD src0_sel:WORD_1 src1_sel:DWORD
	v_fma_f16 v76, v66, s4, v76
	v_fma_f16 v62, v63, s5, v62
	v_add_f16_e32 v44, v44, v30
	v_fma_f16 v70, v60, s4, v70
	v_add_f16_e32 v71, v71, v14
	v_add_f16_e32 v74, v65, v74
	v_mul_f16_e32 v77, 0x38b4, v76
	v_fma_f16 v60, v60, s4, v62
	v_fma_f16 v62, v73, s6, v72
	;; [unrolled: 1-line block ×3, first 2 shown]
	v_add_f16_e32 v44, v44, v36
	v_add_f16_e32 v71, v71, v29
	v_fma_f16 v77, v74, s10, v77
	v_sub_f16_sdwa v62, v62, v65 dst_sel:DWORD dst_unused:UNUSED_PAD src0_sel:DWORD src1_sel:WORD_1
	v_fma_f16 v43, v47, s1, v43
	v_add_f16_e32 v78, v44, v71
	v_add_f16_e32 v62, v65, v62
	v_fma_f16 v47, v66, s4, v43
	v_sub_f16_e32 v43, v44, v71
	v_sub_f16_e32 v44, v70, v77
	v_sub_f16_e32 v17, v64, v17
	v_pack_b32_f16 v17, v44, v17
	v_mul_f16_e32 v44, 0x3a79, v62
	v_add_f16_e32 v79, v70, v77
	v_fma_f16 v44, v47, s1, -v44
	v_pack_b32_f16 v78, v78, v79
	v_mul_i32_i24_e32 v79, 10, v2
	v_add_f16_e32 v56, v60, v44
	v_lshl_add_u32 v79, v79, 1, v58
	v_pack_b32_f16 v43, v56, v43
	ds_write2_b32 v79, v43, v17 offset0:2 offset1:3
	v_add_f16_e32 v17, v23, v21
	v_fma_f16 v17, v17, -0.5, v18
	v_sub_f16_e32 v18, v19, v23
	v_sub_f16_e32 v43, v20, v21
	v_add_f16_e32 v18, v18, v43
	v_fma_f16 v43, v48, s6, v17
	v_fma_f16 v17, v48, s0, v17
	;; [unrolled: 1-line block ×6, first 2 shown]
	v_sub_f16_e32 v48, v19, v20
	v_sub_f16_e32 v18, v27, v38
	;; [unrolled: 1-line block ×3, first 2 shown]
	v_add_f16_e32 v56, v18, v19
	v_add_f16_e32 v19, v25, v27
	;; [unrolled: 1-line block ×4, first 2 shown]
	v_sub_f16_e32 v20, v38, v27
	v_add_f16_e32 v64, v19, v41
	v_sub_f16_e32 v19, v39, v41
	v_add_f16_e32 v19, v20, v19
	v_add_f16_sdwa v20, v53, v24 dst_sel:DWORD dst_unused:UNUSED_PAD src0_sel:DWORD src1_sel:WORD_1
	v_add_f16_sdwa v20, v20, v40 dst_sel:DWORD dst_unused:UNUSED_PAD src0_sel:DWORD src1_sel:WORD_1
	v_add_f16_e32 v18, v38, v39
	v_add_f16_sdwa v20, v20, v26 dst_sel:DWORD dst_unused:UNUSED_PAD src0_sel:DWORD src1_sel:WORD_1
	v_fma_f16 v63, v18, -0.5, v25
	v_add_f16_e32 v18, v27, v41
	v_add_f16_sdwa v53, v20, v42 dst_sel:DWORD dst_unused:UNUSED_PAD src0_sel:DWORD src1_sel:WORD_1
	v_mul_f16_e32 v20, 0xb8b4, v52
	v_fma_f16 v18, v18, -0.5, v25
	v_fma_f16 v52, v55, s10, v20
	v_sub_f16_e32 v20, v60, v44
	v_sub_f16_e32 v25, v61, v45
	v_pack_b32_f16 v20, v25, v20
	v_sub_f16_e32 v46, v23, v21
	ds_write_b32 v79, v20 offset:16
	v_fma_f16 v20, v48, s0, v18
	v_fma_f16 v18, v48, s6, v18
	v_fma_f16 v20, v46, s5, v20
	v_fma_f16 v18, v46, s1, v18
	v_pk_add_f16 v23, v24, v42
	v_pack_b32_f16 v18, v18, v20
	v_mul_f16_e32 v19, 0x34f2, v19
	v_pk_add_f16 v21, v40, v24 neg_lo:[0,1] neg_hi:[0,1]
	v_pk_add_f16 v24, v26, v42 neg_lo:[0,1] neg_hi:[0,1]
	v_pk_add_f16 v55, v19, v18 op_sel_hi:[0,1]
	v_pk_fma_f16 v18, v23, 0.5, v22 op_sel_hi:[1,0,1] neg_lo:[1,0,0] neg_hi:[1,0,0]
	v_pk_mul_f16 v20, v51, s0 op_sel_hi:[1,0]
	v_pk_add_f16 v19, v21, v24
	v_pk_add_f16 v21, v20, v18 op_sel:[1,0] op_sel_hi:[0,1]
	v_pk_add_f16 v18, v18, v20 op_sel:[0,1] op_sel_hi:[1,0] neg_lo:[0,1] neg_hi:[0,1]
	v_pk_mul_f16 v20, v50, s1 op_sel_hi:[1,0]
	v_pk_add_f16 v21, v21, v20 op_sel:[0,1] op_sel_hi:[1,0] neg_lo:[0,1] neg_hi:[0,1]
	v_pk_add_f16 v18, v20, v18 op_sel:[1,0] op_sel_hi:[0,1]
	v_pk_fma_f16 v20, v19, s4, v21 op_sel_hi:[1,0,1]
	v_pk_fma_f16 v18, v19, s4, v18 op_sel_hi:[1,0,1]
	v_mul_f16_e32 v19, 0x34f2, v18
	v_lshrrev_b32_e32 v21, 16, v20
	v_fma_f16 v19, v21, s0, v19
	v_mul_f16_e32 v21, 0x34f2, v20
	v_lshrrev_b32_e32 v22, 16, v18
	s_mov_b32 s12, 0x34f23b9c
	v_fma_f16 v21, v22, s0, -v21
	s_mov_b32 s11, 0x34f2bb9c
	v_pk_mul_f16 v18, v18, s12
	v_pk_fma_f16 v50, v20, s11, v18 op_sel:[0,0,1] op_sel_hi:[1,1,0] neg_lo:[0,0,1] neg_hi:[0,0,1]
	v_add_f16_e32 v18, v43, v19
	v_add_f16_e32 v20, v17, v21
	v_sub_f16_e32 v17, v17, v21
	v_pack_b32_f16 v18, v18, v20
	ds_write2_b32 v79, v78, v68 offset1:1
	v_sub_f16_e32 v19, v43, v19
	ds_write_b32 v67, v18 offset:4
	ds_write_b16 v67, v19 offset:14
	ds_write_b16 v67, v17 offset:16
	v_fma_f16 v17, v46, s6, v63
	v_fma_f16 v17, v48, s5, v17
	;; [unrolled: 1-line block ×5, first 2 shown]
	v_mul_f16_e32 v48, 0x3a79, v54
	v_add_f16_e32 v18, v51, v52
	v_fma_f16 v46, v56, s4, v46
	v_fma_f16 v48, v49, s5, -v48
	v_bfi_b32 v51, s7, v51, v55
	v_bfi_b32 v52, s7, v52, v50
	v_add_f16_e32 v17, v64, v53
	v_pk_add_f16 v51, v51, v52 neg_lo:[0,1] neg_hi:[0,1]
	v_add_f16_e32 v52, v46, v48
	v_sub_f16_e32 v46, v46, v48
	v_sub_f16_e32 v48, v55, v50
	v_pack_b32_f16 v60, v17, v18
	v_lshlrev_b32_e32 v18, 1, v3
	s_movk_i32 s13, 0xffee
	v_lshl_add_u32 v26, v4, 1, v58
	v_pack_b32_f16 v46, v48, v46
	v_sub_f16_e32 v28, v28, v36
	v_sub_f16_e32 v30, v31, v30
	;; [unrolled: 1-line block ×4, first 2 shown]
	v_add_f16_sdwa v7, v75, v7 dst_sel:DWORD dst_unused:UNUSED_PAD src0_sel:DWORD src1_sel:WORD_1
	v_add_u32_e32 v17, v58, v18
	v_add3_u32 v18, 0, v18, v5
	v_lshl_add_u32 v19, v9, 1, v58
	v_lshl_add_u32 v25, v10, 1, v58
	v_lshl_add_u32 v27, v11, 1, v58
	v_lshl_add_u32 v20, v6, 1, v58
	v_lshl_add_u32 v21, v12, 1, v58
	v_lshl_add_u32 v22, v8, 1, v58
	v_lshl_add_u32 v23, v13, 1, v58
	s_waitcnt lgkmcnt(0)
	; wave barrier
	s_waitcnt lgkmcnt(0)
	v_mad_i32_i24 v24, v2, s13, v79
	ds_read_u16 v40, v26
	ds_read_u16 v58, v27
	;; [unrolled: 1-line block ×4, first 2 shown]
	ds_read_u16 v65, v18 offset:320
	ds_read_u16 v66, v18 offset:352
	;; [unrolled: 1-line block ×7, first 2 shown]
	ds_read_u16 v39, v20
	ds_read_u16 v73, v21
	;; [unrolled: 1-line block ×4, first 2 shown]
	ds_read_u16 v77, v18 offset:480
	ds_read_u16 v44, v18 offset:448
	ds_read_u16 v78, v25
	ds_read_u16 v41, v24
	ds_read_u16 v43, v18 offset:608
	s_waitcnt lgkmcnt(0)
	; wave barrier
	s_waitcnt lgkmcnt(0)
	ds_write_b32 v67, v46 offset:16
	v_add_f16_e32 v31, v31, v36
	v_add_f16_e32 v36, v34, v35
	;; [unrolled: 1-line block ×3, first 2 shown]
	v_add_f16_sdwa v7, v7, v15 dst_sel:DWORD dst_unused:UNUSED_PAD src0_sel:DWORD src1_sel:WORD_1
	v_fma_f16 v36, v36, -0.5, v32
	v_fma_f16 v46, v46, -0.5, v32
	v_add_f16_e32 v32, v32, v33
	v_add_f16_sdwa v7, v7, v14 dst_sel:DWORD dst_unused:UNUSED_PAD src0_sel:DWORD src1_sel:WORD_1
	v_add_f16_e32 v32, v32, v34
	v_sub_f16_e32 v33, v34, v33
	v_sub_f16_e32 v34, v35, v37
	v_add_f16_sdwa v7, v7, v29 dst_sel:DWORD dst_unused:UNUSED_PAD src0_sel:DWORD src1_sel:WORD_1
	v_fma_f16 v15, v30, s0, v46
	v_fma_f16 v29, v30, s6, v46
	v_add_f16_e32 v33, v33, v34
	v_fma_f16 v15, v28, s5, v15
	v_fma_f16 v29, v28, s1, v29
	v_pack_b32_f16 v15, v29, v15
	v_mul_f16_e32 v29, 0x34f2, v33
	v_fma_f16 v33, v28, s6, v36
	v_mul_f16_e32 v14, 0xb8b4, v74
	v_pk_add_f16 v15, v29, v15 op_sel_hi:[0,1]
	v_pk_mul_f16 v29, v59, s12
	v_fma_f16 v33, v30, s5, v33
	v_fma_f16 v28, v28, s0, v36
	v_add_f16_e32 v32, v32, v35
	v_fma_f16 v14, v76, s10, v14
	v_pk_fma_f16 v29, v57, s11, v29 op_sel:[0,0,1] op_sel_hi:[1,1,0] neg_lo:[0,0,1] neg_hi:[0,0,1]
	v_fma_f16 v33, v31, s4, v33
	v_fma_f16 v28, v30, s1, v28
	v_mul_f16_e32 v30, 0x3a79, v47
	v_add_f16_e32 v32, v32, v37
	v_add_f16_e32 v35, v33, v14
	v_fma_f16 v28, v31, s4, v28
	v_fma_f16 v30, v62, s5, -v30
	v_bfi_b32 v31, s7, v33, v15
	v_bfi_b32 v14, s7, v14, v29
	v_pk_add_f16 v80, v55, v50
	v_sub_f16_e32 v49, v64, v53
	v_add_f16_e32 v34, v32, v7
	v_sub_f16_e32 v7, v32, v7
	v_pk_add_f16 v14, v31, v14 neg_lo:[0,1] neg_hi:[0,1]
	v_add_f16_e32 v31, v28, v30
	v_alignbit_b32 v80, v80, v80, 16
	v_pack_b32_f16 v49, v52, v49
	v_pack_b32_f16 v7, v31, v7
	ds_write2_b32 v67, v60, v80 offset1:1
	ds_write2_b32 v67, v49, v51 offset0:2 offset1:3
	ds_write2_b32 v79, v7, v14 offset0:2 offset1:3
	v_sub_f16_e32 v7, v28, v30
	v_sub_f16_e32 v14, v15, v29
	v_pack_b32_f16 v34, v34, v35
	v_pk_add_f16 v35, v15, v29
	v_pack_b32_f16 v7, v14, v7
	v_alignbit_b32 v35, v35, v35, 16
	ds_write_b32 v79, v7 offset:16
	v_add_u32_e32 v7, -10, v3
	v_cmp_gt_u32_e64 s[0:1], 10, v3
	ds_write2_b32 v79, v34, v35 offset1:1
	v_cndmask_b32_e64 v34, v7, v3, s[0:1]
	v_mul_i32_i24_e32 v14, 3, v34
	v_mov_b32_e32 v15, 0
	v_lshlrev_b64 v[28:29], 2, v[14:15]
	v_mov_b32_e32 v7, s9
	v_add_co_u32_e64 v28, s[0:1], s8, v28
	v_addc_co_u32_e64 v29, s[0:1], v7, v29, s[0:1]
	s_movk_i32 s0, 0xcd
	v_mul_lo_u16_sdwa v14, v2, s0 dst_sel:DWORD dst_unused:UNUSED_PAD src0_sel:BYTE_0 src1_sel:DWORD
	s_waitcnt lgkmcnt(0)
	; wave barrier
	s_waitcnt lgkmcnt(0)
	global_load_dwordx3 v[28:30], v[28:29], off
	v_lshrrev_b16_e32 v14, 11, v14
	v_mul_lo_u16_e32 v31, 10, v14
	v_sub_u16_e32 v35, v2, v31
	v_mov_b32_e32 v36, 3
	v_mul_u32_u24_sdwa v31, v35, v36 dst_sel:DWORD dst_unused:UNUSED_PAD src0_sel:BYTE_0 src1_sel:DWORD
	v_lshlrev_b32_e32 v31, 2, v31
	global_load_dwordx3 v[31:33], v31, s[8:9]
	ds_read_u16 v37, v19
	ds_read_u16 v46, v18 offset:320
	ds_read_u16 v47, v18 offset:352
	;; [unrolled: 1-line block ×6, first 2 shown]
	ds_read_u16 v52, v17
	v_lshlrev_b32_e32 v34, 1, v34
	s_waitcnt vmcnt(1) lgkmcnt(7)
	v_mul_f16_sdwa v53, v37, v28 dst_sel:DWORD dst_unused:UNUSED_PAD src0_sel:DWORD src1_sel:WORD_1
	v_mul_f16_sdwa v54, v61, v28 dst_sel:DWORD dst_unused:UNUSED_PAD src0_sel:DWORD src1_sel:WORD_1
	v_fma_f16 v53, v61, v28, -v53
	v_fma_f16 v37, v37, v28, v54
	s_waitcnt lgkmcnt(6)
	v_mul_f16_sdwa v28, v46, v29 dst_sel:DWORD dst_unused:UNUSED_PAD src0_sel:DWORD src1_sel:WORD_1
	v_fma_f16 v54, v65, v29, -v28
	v_mul_f16_sdwa v28, v65, v29 dst_sel:DWORD dst_unused:UNUSED_PAD src0_sel:DWORD src1_sel:WORD_1
	v_fma_f16 v46, v46, v29, v28
	s_waitcnt lgkmcnt(1)
	v_mul_f16_sdwa v28, v51, v30 dst_sel:DWORD dst_unused:UNUSED_PAD src0_sel:DWORD src1_sel:WORD_1
	v_fma_f16 v55, v77, v30, -v28
	v_mul_f16_sdwa v28, v77, v30 dst_sel:DWORD dst_unused:UNUSED_PAD src0_sel:DWORD src1_sel:WORD_1
	v_fma_f16 v51, v51, v30, v28
	ds_read_u16 v28, v25
	ds_read_u16 v56, v26
	;; [unrolled: 1-line block ×3, first 2 shown]
	ds_read_u16 v29, v18 offset:512
	ds_read_u16 v59, v18 offset:544
	;; [unrolled: 1-line block ×4, first 2 shown]
	ds_read_u16 v62, v24
	s_waitcnt vmcnt(0) lgkmcnt(7)
	v_mul_f16_sdwa v30, v28, v31 dst_sel:DWORD dst_unused:UNUSED_PAD src0_sel:DWORD src1_sel:WORD_1
	v_fma_f16 v63, v78, v31, -v30
	v_mul_f16_sdwa v30, v78, v31 dst_sel:DWORD dst_unused:UNUSED_PAD src0_sel:DWORD src1_sel:WORD_1
	v_fma_f16 v64, v28, v31, v30
	v_mul_f16_sdwa v28, v47, v32 dst_sel:DWORD dst_unused:UNUSED_PAD src0_sel:DWORD src1_sel:WORD_1
	v_fma_f16 v65, v66, v32, -v28
	v_mul_f16_sdwa v28, v66, v32 dst_sel:DWORD dst_unused:UNUSED_PAD src0_sel:DWORD src1_sel:WORD_1
	v_fma_f16 v47, v47, v32, v28
	s_waitcnt lgkmcnt(4)
	v_mul_f16_sdwa v28, v29, v33 dst_sel:DWORD dst_unused:UNUSED_PAD src0_sel:DWORD src1_sel:WORD_1
	v_fma_f16 v66, v70, v33, -v28
	v_mul_f16_sdwa v28, v70, v33 dst_sel:DWORD dst_unused:UNUSED_PAD src0_sel:DWORD src1_sel:WORD_1
	v_fma_f16 v67, v29, v33, v28
	v_mul_lo_u16_sdwa v28, v4, s0 dst_sel:DWORD dst_unused:UNUSED_PAD src0_sel:BYTE_0 src1_sel:DWORD
	v_lshrrev_b16_e32 v70, 11, v28
	v_mul_lo_u16_e32 v28, 10, v70
	v_sub_u16_e32 v74, v4, v28
	v_mul_u32_u24_sdwa v28, v74, v36 dst_sel:DWORD dst_unused:UNUSED_PAD src0_sel:BYTE_0 src1_sel:DWORD
	v_lshlrev_b32_e32 v75, 2, v28
	v_mul_lo_u16_sdwa v28, v6, s0 dst_sel:DWORD dst_unused:UNUSED_PAD src0_sel:BYTE_0 src1_sel:DWORD
	v_lshrrev_b16_e32 v76, 11, v28
	v_mul_lo_u16_e32 v28, 10, v76
	v_sub_u16_e32 v77, v6, v28
	v_mul_u32_u24_sdwa v28, v77, v36 dst_sel:DWORD dst_unused:UNUSED_PAD src0_sel:BYTE_0 src1_sel:DWORD
	v_lshlrev_b32_e32 v78, 2, v28
	global_load_dwordx3 v[28:30], v75, s[8:9]
	global_load_dwordx3 v[31:33], v78, s[8:9]
	s_waitcnt vmcnt(1)
	v_mul_f16_sdwa v75, v57, v28 dst_sel:DWORD dst_unused:UNUSED_PAD src0_sel:DWORD src1_sel:WORD_1
	v_fma_f16 v75, v58, v28, -v75
	v_mul_f16_sdwa v58, v58, v28 dst_sel:DWORD dst_unused:UNUSED_PAD src0_sel:DWORD src1_sel:WORD_1
	v_fma_f16 v57, v57, v28, v58
	v_mul_f16_sdwa v28, v48, v29 dst_sel:DWORD dst_unused:UNUSED_PAD src0_sel:DWORD src1_sel:WORD_1
	v_fma_f16 v58, v68, v29, -v28
	v_mul_f16_sdwa v28, v68, v29 dst_sel:DWORD dst_unused:UNUSED_PAD src0_sel:DWORD src1_sel:WORD_1
	v_fma_f16 v48, v48, v29, v28
	s_waitcnt lgkmcnt(3)
	v_mul_f16_sdwa v28, v59, v30 dst_sel:DWORD dst_unused:UNUSED_PAD src0_sel:DWORD src1_sel:WORD_1
	v_fma_f16 v68, v71, v30, -v28
	v_mul_f16_sdwa v28, v71, v30 dst_sel:DWORD dst_unused:UNUSED_PAD src0_sel:DWORD src1_sel:WORD_1
	v_fma_f16 v59, v59, v30, v28
	ds_read_u16 v28, v21
	ds_read_u16 v71, v22
	ds_read_u16 v78, v23
	ds_read_u16 v79, v20
	s_waitcnt vmcnt(0) lgkmcnt(3)
	v_mul_f16_sdwa v29, v28, v31 dst_sel:DWORD dst_unused:UNUSED_PAD src0_sel:DWORD src1_sel:WORD_1
	v_fma_f16 v80, v73, v31, -v29
	v_mul_f16_sdwa v29, v73, v31 dst_sel:DWORD dst_unused:UNUSED_PAD src0_sel:DWORD src1_sel:WORD_1
	v_fma_f16 v31, v28, v31, v29
	v_mul_f16_sdwa v28, v49, v32 dst_sel:DWORD dst_unused:UNUSED_PAD src0_sel:DWORD src1_sel:WORD_1
	v_fma_f16 v73, v69, v32, -v28
	v_mul_f16_sdwa v28, v69, v32 dst_sel:DWORD dst_unused:UNUSED_PAD src0_sel:DWORD src1_sel:WORD_1
	v_fma_f16 v32, v49, v32, v28
	;; [unrolled: 4-line block ×3, first 2 shown]
	v_mul_lo_u16_sdwa v28, v8, s0 dst_sel:DWORD dst_unused:UNUSED_PAD src0_sel:BYTE_0 src1_sel:DWORD
	v_lshrrev_b16_e32 v60, 11, v28
	v_mul_lo_u16_e32 v28, 10, v60
	v_sub_u16_e32 v69, v8, v28
	v_mul_u32_u24_sdwa v28, v69, v36 dst_sel:DWORD dst_unused:UNUSED_PAD src0_sel:BYTE_0 src1_sel:DWORD
	v_lshlrev_b32_e32 v28, 2, v28
	global_load_dwordx3 v[28:30], v28, s[8:9]
	v_cmp_lt_u32_e64 s[0:1], 9, v3
	s_waitcnt lgkmcnt(0)
	; wave barrier
	s_waitcnt lgkmcnt(0)
	v_sub_f16_e32 v49, v80, v49
	v_sub_f16_e32 v33, v31, v33
	s_waitcnt vmcnt(0)
	v_mul_f16_sdwa v36, v78, v28 dst_sel:DWORD dst_unused:UNUSED_PAD src0_sel:DWORD src1_sel:WORD_1
	v_fma_f16 v36, v45, v28, -v36
	v_mul_f16_sdwa v45, v45, v28 dst_sel:DWORD dst_unused:UNUSED_PAD src0_sel:DWORD src1_sel:WORD_1
	v_fma_f16 v45, v78, v28, v45
	v_mul_f16_sdwa v28, v50, v29 dst_sel:DWORD dst_unused:UNUSED_PAD src0_sel:DWORD src1_sel:WORD_1
	v_fma_f16 v28, v44, v29, -v28
	v_mul_f16_sdwa v44, v44, v29 dst_sel:DWORD dst_unused:UNUSED_PAD src0_sel:DWORD src1_sel:WORD_1
	v_fma_f16 v44, v50, v29, v44
	;; [unrolled: 4-line block ×3, first 2 shown]
	v_mov_b32_e32 v43, 0x50
	v_cndmask_b32_e64 v43, 0, v43, s[0:1]
	v_add_u32_e32 v43, 0, v43
	v_add3_u32 v34, v43, v34, v5
	v_sub_f16_e32 v43, v42, v54
	v_sub_f16_e32 v50, v53, v55
	v_fma_f16 v42, v42, 2.0, -v43
	v_fma_f16 v53, v53, 2.0, -v50
	v_sub_f16_e32 v53, v42, v53
	v_fma_f16 v42, v42, 2.0, -v53
	ds_write_b16 v34, v42
	v_sub_f16_e32 v42, v37, v51
	v_fma_f16 v37, v37, 2.0, -v42
	v_sub_f16_e32 v42, v43, v42
	v_fma_f16 v43, v43, 2.0, -v42
	ds_write_b16 v34, v43 offset:20
	ds_write_b16 v34, v53 offset:40
	;; [unrolled: 1-line block ×3, first 2 shown]
	s_movk_i32 s0, 0x50
	v_mov_b32_e32 v42, 1
	v_mad_u32_u24 v14, v14, s0, 0
	v_lshlrev_b32_sdwa v35, v42, v35 dst_sel:DWORD dst_unused:UNUSED_PAD src0_sel:DWORD src1_sel:BYTE_0
	v_add3_u32 v14, v14, v35, v5
	v_sub_f16_e32 v35, v41, v65
	v_sub_f16_e32 v43, v63, v66
	v_fma_f16 v41, v41, 2.0, -v35
	v_fma_f16 v51, v63, 2.0, -v43
	v_sub_f16_e32 v51, v41, v51
	v_fma_f16 v41, v41, 2.0, -v51
	ds_write_b16 v14, v41
	v_sub_f16_e32 v41, v64, v67
	v_sub_f16_e32 v53, v35, v41
	v_fma_f16 v35, v35, 2.0, -v53
	ds_write_b16 v14, v35 offset:20
	ds_write_b16 v14, v51 offset:40
	;; [unrolled: 1-line block ×3, first 2 shown]
	v_mad_u32_u24 v35, v70, s0, 0
	v_lshlrev_b32_sdwa v51, v42, v74 dst_sel:DWORD dst_unused:UNUSED_PAD src0_sel:DWORD src1_sel:BYTE_0
	v_add3_u32 v35, v35, v51, v5
	v_sub_f16_e32 v51, v40, v58
	v_sub_f16_e32 v53, v75, v68
	v_fma_f16 v40, v40, 2.0, -v51
	v_fma_f16 v54, v75, 2.0, -v53
	v_sub_f16_e32 v54, v40, v54
	v_fma_f16 v40, v40, 2.0, -v54
	ds_write_b16 v35, v40
	v_sub_f16_e32 v40, v57, v59
	v_sub_f16_e32 v55, v51, v40
	v_fma_f16 v51, v51, 2.0, -v55
	ds_write_b16 v35, v51 offset:20
	ds_write_b16 v35, v54 offset:40
	;; [unrolled: 1-line block ×3, first 2 shown]
	v_mad_u32_u24 v51, v76, s0, 0
	v_lshlrev_b32_sdwa v54, v42, v77 dst_sel:DWORD dst_unused:UNUSED_PAD src0_sel:DWORD src1_sel:BYTE_0
	v_add3_u32 v51, v51, v54, v5
	v_sub_f16_e32 v54, v39, v73
	v_fma_f16 v39, v39, 2.0, -v54
	v_fma_f16 v55, v80, 2.0, -v49
	v_sub_f16_e32 v55, v39, v55
	v_fma_f16 v39, v39, 2.0, -v55
	ds_write_b16 v51, v39
	v_sub_f16_e32 v39, v54, v33
	v_fma_f16 v54, v54, 2.0, -v39
	ds_write_b16 v51, v54 offset:20
	ds_write_b16 v51, v55 offset:40
	ds_write_b16 v51, v39 offset:60
	v_lshlrev_b32_sdwa v39, v42, v69 dst_sel:DWORD dst_unused:UNUSED_PAD src0_sel:DWORD src1_sel:BYTE_0
	v_mad_u32_u24 v42, v60, s0, 0
	v_add3_u32 v39, v42, v39, v5
	v_sub_f16_e32 v28, v38, v28
	v_sub_f16_e32 v42, v36, v29
	v_fma_f16 v38, v38, 2.0, -v28
	v_fma_f16 v29, v36, 2.0, -v42
	v_sub_f16_e32 v29, v38, v29
	v_fma_f16 v36, v38, 2.0, -v29
	ds_write_b16 v39, v36
	v_sub_f16_e32 v36, v45, v30
	v_sub_f16_e32 v30, v28, v36
	v_fma_f16 v28, v28, 2.0, -v30
	v_sub_f16_e32 v38, v52, v46
	ds_write_b16 v39, v28 offset:20
	ds_write_b16 v39, v29 offset:40
	;; [unrolled: 1-line block ×3, first 2 shown]
	v_fma_f16 v28, v52, 2.0, -v38
	v_sub_f16_e32 v37, v28, v37
	v_fma_f16 v46, v28, 2.0, -v37
	s_waitcnt lgkmcnt(0)
	; wave barrier
	s_waitcnt lgkmcnt(0)
	ds_read_u16 v29, v26
	ds_read_u16 v52, v27
	;; [unrolled: 1-line block ×4, first 2 shown]
	ds_read_u16 v58, v18 offset:320
	ds_read_u16 v59, v18 offset:352
	;; [unrolled: 1-line block ×7, first 2 shown]
	ds_read_u16 v30, v20
	ds_read_u16 v67, v21
	;; [unrolled: 1-line block ×4, first 2 shown]
	ds_read_u16 v69, v18 offset:480
	ds_read_u16 v70, v18 offset:448
	ds_read_u16 v72, v25
	ds_read_u16 v73, v24
	ds_read_u16 v74, v18 offset:608
	s_waitcnt lgkmcnt(0)
	; wave barrier
	s_waitcnt lgkmcnt(0)
	ds_write_b16 v34, v46
	v_add_f16_e32 v46, v38, v50
	v_fma_f16 v38, v38, 2.0, -v46
	ds_write_b16 v34, v38 offset:20
	ds_write_b16 v34, v37 offset:40
	ds_write_b16 v34, v46 offset:60
	v_sub_f16_e32 v37, v62, v47
	v_fma_f16 v34, v64, 2.0, -v41
	v_fma_f16 v38, v62, 2.0, -v37
	v_sub_f16_e32 v34, v38, v34
	v_fma_f16 v38, v38, 2.0, -v34
	ds_write_b16 v14, v38
	v_add_f16_e32 v38, v37, v43
	v_fma_f16 v37, v37, 2.0, -v38
	ds_write_b16 v14, v37 offset:20
	ds_write_b16 v14, v34 offset:40
	;; [unrolled: 1-line block ×3, first 2 shown]
	v_sub_f16_e32 v34, v56, v48
	v_fma_f16 v14, v57, 2.0, -v40
	v_fma_f16 v37, v56, 2.0, -v34
	v_sub_f16_e32 v14, v37, v14
	v_fma_f16 v37, v37, 2.0, -v14
	ds_write_b16 v35, v37
	v_add_f16_e32 v37, v34, v53
	v_fma_f16 v34, v34, 2.0, -v37
	ds_write_b16 v35, v34 offset:20
	ds_write_b16 v35, v14 offset:40
	;; [unrolled: 1-line block ×3, first 2 shown]
	v_fma_f16 v14, v31, 2.0, -v33
	v_sub_f16_e32 v31, v79, v32
	v_fma_f16 v32, v79, 2.0, -v31
	v_sub_f16_e32 v14, v32, v14
	v_fma_f16 v32, v32, 2.0, -v14
	ds_write_b16 v51, v32
	v_add_f16_e32 v32, v31, v49
	v_fma_f16 v31, v31, 2.0, -v32
	ds_write_b16 v51, v31 offset:20
	ds_write_b16 v51, v14 offset:40
	;; [unrolled: 1-line block ×3, first 2 shown]
	v_sub_f16_e32 v31, v71, v44
	v_fma_f16 v14, v45, 2.0, -v36
	v_fma_f16 v32, v71, 2.0, -v31
	v_sub_f16_e32 v14, v32, v14
	v_fma_f16 v32, v32, 2.0, -v14
	ds_write_b16 v39, v32
	v_add_f16_e32 v32, v31, v42
	v_fma_f16 v31, v31, 2.0, -v32
	ds_write_b16 v39, v31 offset:20
	ds_write_b16 v39, v14 offset:40
	;; [unrolled: 1-line block ×3, first 2 shown]
	v_mul_u32_u24_e32 v14, 3, v3
	v_lshlrev_b32_e32 v42, 2, v14
	s_waitcnt lgkmcnt(0)
	; wave barrier
	s_waitcnt lgkmcnt(0)
	global_load_dwordx3 v[31:33], v42, s[8:9] offset:120
	v_mul_i32_i24_e32 v14, 3, v2
	v_lshlrev_b64 v[34:35], 2, v[14:15]
	v_add_u32_e32 v3, -8, v3
	v_add_co_u32_e64 v40, s[0:1], s8, v34
	v_addc_co_u32_e64 v41, s[0:1], v7, v35, s[0:1]
	global_load_dwordx3 v[34:36], v[40:41], off offset:120
	global_load_dwordx3 v[37:39], v42, s[8:9] offset:216
	ds_read_u16 v14, v19
	ds_read_u16 v40, v18 offset:320
	ds_read_u16 v41, v18 offset:352
	;; [unrolled: 1-line block ×6, first 2 shown]
	ds_read_u16 v47, v17
	v_cmp_gt_u32_e64 s[0:1], 40, v4
	v_cndmask_b32_e64 v3, v3, v4, s[0:1]
	s_waitcnt vmcnt(2)
	v_mul_f16_sdwa v49, v55, v31 dst_sel:DWORD dst_unused:UNUSED_PAD src0_sel:DWORD src1_sel:WORD_1
	s_waitcnt lgkmcnt(7)
	v_mul_f16_sdwa v48, v14, v31 dst_sel:DWORD dst_unused:UNUSED_PAD src0_sel:DWORD src1_sel:WORD_1
	v_fma_f16 v49, v14, v31, v49
	s_waitcnt lgkmcnt(6)
	v_mul_f16_sdwa v14, v40, v32 dst_sel:DWORD dst_unused:UNUSED_PAD src0_sel:DWORD src1_sel:WORD_1
	v_fma_f16 v50, v58, v32, -v14
	v_mul_f16_sdwa v14, v58, v32 dst_sel:DWORD dst_unused:UNUSED_PAD src0_sel:DWORD src1_sel:WORD_1
	v_fma_f16 v40, v40, v32, v14
	s_waitcnt lgkmcnt(1)
	v_mul_f16_sdwa v14, v46, v33 dst_sel:DWORD dst_unused:UNUSED_PAD src0_sel:DWORD src1_sel:WORD_1
	v_fma_f16 v51, v69, v33, -v14
	v_mul_f16_sdwa v14, v69, v33 dst_sel:DWORD dst_unused:UNUSED_PAD src0_sel:DWORD src1_sel:WORD_1
	v_fma_f16 v48, v55, v31, -v48
	v_fma_f16 v46, v46, v33, v14
	ds_read_u16 v14, v25
	ds_read_u16 v53, v26
	;; [unrolled: 1-line block ×3, first 2 shown]
	s_waitcnt vmcnt(1)
	v_mul_f16_sdwa v69, v72, v34 dst_sel:DWORD dst_unused:UNUSED_PAD src0_sel:DWORD src1_sel:WORD_1
	global_load_dwordx3 v[31:33], v42, s[8:9] offset:408
	s_waitcnt lgkmcnt(2)
	v_mul_f16_sdwa v64, v14, v34 dst_sel:DWORD dst_unused:UNUSED_PAD src0_sel:DWORD src1_sel:WORD_1
	v_fma_f16 v69, v14, v34, v69
	v_mul_f16_sdwa v14, v41, v35 dst_sel:DWORD dst_unused:UNUSED_PAD src0_sel:DWORD src1_sel:WORD_1
	ds_read_u16 v42, v18 offset:512
	ds_read_u16 v56, v18 offset:544
	ds_read_u16 v57, v18 offset:576
	ds_read_u16 v58, v18 offset:608
	ds_read_u16 v62, v24
	v_fma_f16 v71, v59, v35, -v14
	v_mul_f16_sdwa v14, v59, v35 dst_sel:DWORD dst_unused:UNUSED_PAD src0_sel:DWORD src1_sel:WORD_1
	v_fma_f16 v59, v41, v35, v14
	s_waitcnt lgkmcnt(4)
	v_mul_f16_sdwa v14, v42, v36 dst_sel:DWORD dst_unused:UNUSED_PAD src0_sel:DWORD src1_sel:WORD_1
	v_fma_f16 v41, v63, v36, -v14
	v_mul_f16_sdwa v14, v63, v36 dst_sel:DWORD dst_unused:UNUSED_PAD src0_sel:DWORD src1_sel:WORD_1
	v_fma_f16 v42, v42, v36, v14
	v_mul_i32_i24_e32 v14, 3, v3
	v_fma_f16 v64, v72, v34, -v64
	v_lshlrev_b64 v[34:35], 2, v[14:15]
	v_lshlrev_b32_e32 v3, 1, v3
	v_add_co_u32_e64 v34, s[0:1], s8, v34
	v_addc_co_u32_e64 v35, s[0:1], v7, v35, s[0:1]
	global_load_dwordx3 v[34:36], v[34:35], off offset:120
	v_cmp_lt_u32_e64 s[0:1], 39, v4
	v_sub_f16_e32 v42, v69, v42
	s_waitcnt vmcnt(0)
	v_mul_f16_sdwa v14, v52, v34 dst_sel:DWORD dst_unused:UNUSED_PAD src0_sel:DWORD src1_sel:WORD_1
	v_mul_f16_sdwa v7, v55, v34 dst_sel:DWORD dst_unused:UNUSED_PAD src0_sel:DWORD src1_sel:WORD_1
	v_fma_f16 v14, v55, v34, v14
	ds_read_u16 v55, v21
	v_fma_f16 v7, v52, v34, -v7
	v_mul_f16_sdwa v34, v43, v35 dst_sel:DWORD dst_unused:UNUSED_PAD src0_sel:DWORD src1_sel:WORD_1
	v_mul_f16_sdwa v52, v60, v35 dst_sel:DWORD dst_unused:UNUSED_PAD src0_sel:DWORD src1_sel:WORD_1
	v_fma_f16 v34, v60, v35, -v34
	v_fma_f16 v52, v43, v35, v52
	s_waitcnt lgkmcnt(4)
	v_mul_f16_sdwa v35, v56, v36 dst_sel:DWORD dst_unused:UNUSED_PAD src0_sel:DWORD src1_sel:WORD_1
	v_mul_f16_sdwa v43, v65, v36 dst_sel:DWORD dst_unused:UNUSED_PAD src0_sel:DWORD src1_sel:WORD_1
	v_fma_f16 v35, v65, v36, -v35
	v_fma_f16 v36, v56, v36, v43
	ds_read_u16 v56, v22
	ds_read_u16 v43, v23
	;; [unrolled: 1-line block ×3, first 2 shown]
	s_waitcnt lgkmcnt(3)
	v_mul_f16_sdwa v63, v55, v37 dst_sel:DWORD dst_unused:UNUSED_PAD src0_sel:DWORD src1_sel:WORD_1
	v_mul_f16_sdwa v65, v67, v37 dst_sel:DWORD dst_unused:UNUSED_PAD src0_sel:DWORD src1_sel:WORD_1
	v_fma_f16 v63, v67, v37, -v63
	v_fma_f16 v55, v55, v37, v65
	v_mul_f16_sdwa v37, v44, v38 dst_sel:DWORD dst_unused:UNUSED_PAD src0_sel:DWORD src1_sel:WORD_1
	v_fma_f16 v37, v61, v38, -v37
	v_mul_f16_sdwa v61, v61, v38 dst_sel:DWORD dst_unused:UNUSED_PAD src0_sel:DWORD src1_sel:WORD_1
	v_fma_f16 v61, v44, v38, v61
	v_mul_f16_sdwa v38, v57, v39 dst_sel:DWORD dst_unused:UNUSED_PAD src0_sel:DWORD src1_sel:WORD_1
	v_mul_f16_sdwa v44, v66, v39 dst_sel:DWORD dst_unused:UNUSED_PAD src0_sel:DWORD src1_sel:WORD_1
	v_fma_f16 v38, v66, v39, -v38
	v_fma_f16 v39, v57, v39, v44
	s_waitcnt lgkmcnt(1)
	v_mul_f16_sdwa v44, v43, v31 dst_sel:DWORD dst_unused:UNUSED_PAD src0_sel:DWORD src1_sel:WORD_1
	v_mul_f16_sdwa v57, v68, v31 dst_sel:DWORD dst_unused:UNUSED_PAD src0_sel:DWORD src1_sel:WORD_1
	v_fma_f16 v44, v68, v31, -v44
	v_fma_f16 v57, v43, v31, v57
	v_mul_f16_sdwa v31, v45, v32 dst_sel:DWORD dst_unused:UNUSED_PAD src0_sel:DWORD src1_sel:WORD_1
	v_mul_f16_sdwa v43, v70, v32 dst_sel:DWORD dst_unused:UNUSED_PAD src0_sel:DWORD src1_sel:WORD_1
	v_fma_f16 v31, v70, v32, -v31
	v_fma_f16 v65, v45, v32, v43
	;; [unrolled: 4-line block ×3, first 2 shown]
	v_mov_b32_e32 v43, 0x140
	v_cndmask_b32_e64 v43, 0, v43, s[0:1]
	v_add_u32_e32 v43, 0, v43
	v_add3_u32 v3, v43, v3, v5
	v_sub_f16_e32 v5, v54, v50
	v_sub_f16_e32 v50, v48, v51
	v_fma_f16 v43, v54, 2.0, -v5
	v_fma_f16 v45, v48, 2.0, -v50
	v_sub_f16_e32 v45, v43, v45
	v_fma_f16 v43, v43, 2.0, -v45
	s_waitcnt lgkmcnt(0)
	; wave barrier
	s_waitcnt lgkmcnt(0)
	ds_write_b16 v18, v43
	v_sub_f16_e32 v43, v49, v46
	v_fma_f16 v46, v49, 2.0, -v43
	v_sub_f16_e32 v43, v5, v43
	v_fma_f16 v5, v5, 2.0, -v43
	ds_write_b16 v18, v5 offset:80
	ds_write_b16 v18, v45 offset:160
	;; [unrolled: 1-line block ×3, first 2 shown]
	v_sub_f16_e32 v5, v73, v71
	v_sub_f16_e32 v48, v64, v41
	v_fma_f16 v43, v73, 2.0, -v5
	v_fma_f16 v41, v64, 2.0, -v48
	v_sub_f16_e32 v41, v43, v41
	v_fma_f16 v49, v69, 2.0, -v42
	v_sub_f16_e32 v42, v5, v42
	v_fma_f16 v43, v43, 2.0, -v41
	v_fma_f16 v5, v5, 2.0, -v42
	ds_write_b16 v24, v43
	ds_write_b16 v24, v5 offset:80
	ds_write_b16 v24, v41 offset:160
	;; [unrolled: 1-line block ×3, first 2 shown]
	v_sub_f16_e32 v5, v29, v34
	v_sub_f16_e32 v51, v7, v35
	v_fma_f16 v29, v29, 2.0, -v5
	v_fma_f16 v7, v7, 2.0, -v51
	v_sub_f16_e32 v7, v29, v7
	v_fma_f16 v29, v29, 2.0, -v7
	ds_write_b16 v3, v29
	v_sub_f16_e32 v29, v14, v36
	v_fma_f16 v14, v14, 2.0, -v29
	v_sub_f16_e32 v29, v5, v29
	v_fma_f16 v5, v5, 2.0, -v29
	ds_write_b16 v3, v5 offset:80
	ds_write_b16 v3, v7 offset:160
	;; [unrolled: 1-line block ×3, first 2 shown]
	v_sub_f16_e32 v5, v30, v37
	v_sub_f16_e32 v54, v63, v38
	v_fma_f16 v7, v30, 2.0, -v5
	v_fma_f16 v29, v63, 2.0, -v54
	v_sub_f16_e32 v29, v7, v29
	v_fma_f16 v7, v7, 2.0, -v29
	ds_write_b16 v18, v7 offset:336
	v_sub_f16_e32 v7, v55, v39
	v_sub_f16_e32 v30, v5, v7
	v_fma_f16 v5, v5, 2.0, -v30
	ds_write_b16 v18, v5 offset:416
	ds_write_b16 v18, v29 offset:496
	;; [unrolled: 1-line block ×3, first 2 shown]
	v_sub_f16_e32 v5, v28, v31
	v_sub_f16_e32 v58, v44, v32
	v_fma_f16 v28, v28, 2.0, -v5
	v_fma_f16 v29, v44, 2.0, -v58
	v_sub_f16_e32 v29, v28, v29
	v_fma_f16 v28, v28, 2.0, -v29
	v_sub_f16_e32 v63, v57, v33
	ds_write_b16 v18, v28 offset:368
	v_sub_f16_e32 v28, v5, v63
	v_fma_f16 v5, v5, 2.0, -v28
	ds_write_b16 v18, v5 offset:448
	ds_write_b16 v18, v29 offset:528
	;; [unrolled: 1-line block ×3, first 2 shown]
	v_sub_f16_e32 v5, v47, v40
	v_fma_f16 v28, v47, 2.0, -v5
	v_sub_f16_e32 v64, v28, v46
	v_add_f16_e32 v50, v5, v50
	v_fma_f16 v66, v28, 2.0, -v64
	s_waitcnt lgkmcnt(0)
	; wave barrier
	s_waitcnt lgkmcnt(0)
	ds_read_u16 v28, v17
	ds_read_u16 v32, v20
	ds_read_u16 v31, v18 offset:384
	ds_read_u16 v33, v18 offset:416
	;; [unrolled: 1-line block ×6, first 2 shown]
	ds_read_u16 v39, v19
	ds_read_u16 v45, v23
	;; [unrolled: 1-line block ×4, first 2 shown]
	ds_read_u16 v40, v18 offset:512
	ds_read_u16 v42, v18 offset:544
	;; [unrolled: 1-line block ×3, first 2 shown]
	ds_read_u16 v43, v27
	ds_read_u16 v36, v26
	;; [unrolled: 1-line block ×4, first 2 shown]
	ds_read_u16 v47, v18 offset:608
	v_fma_f16 v5, v5, 2.0, -v50
	s_waitcnt lgkmcnt(0)
	; wave barrier
	s_waitcnt lgkmcnt(0)
	ds_write_b16 v18, v66
	ds_write_b16 v18, v5 offset:80
	ds_write_b16 v18, v64 offset:160
	;; [unrolled: 1-line block ×3, first 2 shown]
	v_sub_f16_e32 v5, v62, v59
	v_fma_f16 v50, v62, 2.0, -v5
	v_sub_f16_e32 v49, v50, v49
	v_add_f16_e32 v48, v5, v48
	v_fma_f16 v50, v50, 2.0, -v49
	v_fma_f16 v5, v5, 2.0, -v48
	ds_write_b16 v24, v50
	ds_write_b16 v24, v5 offset:80
	ds_write_b16 v24, v49 offset:160
	;; [unrolled: 1-line block ×3, first 2 shown]
	v_sub_f16_e32 v5, v53, v52
	v_fma_f16 v48, v53, 2.0, -v5
	v_sub_f16_e32 v14, v48, v14
	v_fma_f16 v48, v48, 2.0, -v14
	ds_write_b16 v3, v48
	v_add_f16_e32 v48, v5, v51
	v_fma_f16 v5, v5, 2.0, -v48
	ds_write_b16 v3, v5 offset:80
	ds_write_b16 v3, v14 offset:160
	;; [unrolled: 1-line block ×3, first 2 shown]
	v_fma_f16 v3, v55, 2.0, -v7
	v_sub_f16_e32 v7, v60, v61
	v_fma_f16 v14, v60, 2.0, -v7
	v_sub_f16_e32 v3, v14, v3
	v_fma_f16 v14, v14, 2.0, -v3
	ds_write_b16 v18, v14 offset:336
	v_add_f16_e32 v14, v7, v54
	v_fma_f16 v7, v7, 2.0, -v14
	ds_write_b16 v18, v7 offset:416
	ds_write_b16 v18, v3 offset:496
	;; [unrolled: 1-line block ×3, first 2 shown]
	v_sub_f16_e32 v3, v56, v65
	v_fma_f16 v5, v57, 2.0, -v63
	v_fma_f16 v7, v56, 2.0, -v3
	v_sub_f16_e32 v5, v7, v5
	v_fma_f16 v7, v7, 2.0, -v5
	ds_write_b16 v18, v7 offset:368
	v_add_f16_e32 v7, v3, v58
	v_fma_f16 v3, v3, 2.0, -v7
	ds_write_b16 v18, v3 offset:448
	ds_write_b16 v18, v5 offset:528
	;; [unrolled: 1-line block ×3, first 2 shown]
	s_waitcnt lgkmcnt(0)
	; wave barrier
	s_waitcnt lgkmcnt(0)
	s_and_saveexec_b64 s[0:1], vcc
	s_cbranch_execz .LBB0_15
; %bb.14:
	v_mov_b32_e32 v14, v15
	v_lshlrev_b64 v[13:14], 2, v[13:14]
	v_mov_b32_e32 v48, s9
	v_add_co_u32_e32 v13, vcc, s8, v13
	v_addc_co_u32_e32 v14, vcc, v48, v14, vcc
	global_load_dword v14, v[13:14], off offset:600
	v_mov_b32_e32 v13, v15
	v_lshlrev_b64 v[12:13], 2, v[12:13]
	v_mov_b32_e32 v7, v15
	v_add_co_u32_e32 v12, vcc, s8, v12
	v_addc_co_u32_e32 v13, vcc, v48, v13, vcc
	global_load_dword v13, v[12:13], off offset:600
	v_mov_b32_e32 v12, v15
	v_lshlrev_b64 v[11:12], 2, v[11:12]
	v_lshlrev_b64 v[6:7], 2, v[6:7]
	v_add_co_u32_e32 v11, vcc, s8, v11
	v_addc_co_u32_e32 v12, vcc, v48, v12, vcc
	global_load_dword v12, v[11:12], off offset:600
	v_mov_b32_e32 v11, v15
	v_lshlrev_b64 v[10:11], 2, v[10:11]
	v_mov_b32_e32 v5, v15
	v_add_co_u32_e32 v10, vcc, s8, v10
	v_addc_co_u32_e32 v11, vcc, v48, v11, vcc
	global_load_dword v11, v[10:11], off offset:600
	v_mov_b32_e32 v10, v15
	v_lshlrev_b64 v[9:10], 2, v[9:10]
	v_lshlrev_b64 v[4:5], 2, v[4:5]
	v_add_co_u32_e32 v9, vcc, s8, v9
	v_addc_co_u32_e32 v10, vcc, v48, v10, vcc
	global_load_dword v10, v[9:10], off offset:600
	v_mov_b32_e32 v9, v15
	v_lshlrev_b64 v[8:9], 2, v[8:9]
	v_mov_b32_e32 v3, v15
	v_add_co_u32_e32 v8, vcc, s8, v8
	v_addc_co_u32_e32 v9, vcc, v48, v9, vcc
	global_load_dword v8, v[8:9], off offset:600
	v_add_co_u32_e32 v6, vcc, s8, v6
	v_addc_co_u32_e32 v7, vcc, v48, v7, vcc
	ds_read_u16 v9, v27
	ds_read_u16 v26, v26
	global_load_dword v6, v[6:7], off offset:600
	v_add_co_u32_e32 v4, vcc, s8, v4
	v_lshlrev_b64 v[2:3], 2, v[2:3]
	v_addc_co_u32_e32 v5, vcc, v48, v5, vcc
	ds_read_u16 v7, v25
	ds_read_u16 v15, v24
	global_load_dword v4, v[4:5], off offset:600
	v_add_co_u32_e32 v2, vcc, s8, v2
	v_addc_co_u32_e32 v3, vcc, v48, v3, vcc
	global_load_dword v2, v[2:3], off offset:600
	ds_read_u16 v3, v18 offset:608
	ds_read_u16 v5, v18 offset:576
	;; [unrolled: 1-line block ×3, first 2 shown]
	ds_read_u16 v23, v23
	ds_read_u16 v22, v22
	global_load_dword v25, v16, s[8:9] offset:600
	ds_read_u16 v21, v21
	v_add_co_u32_e32 v0, vcc, s2, v0
	s_waitcnt vmcnt(9) lgkmcnt(5)
	v_mul_f16_sdwa v27, v3, v14 dst_sel:DWORD dst_unused:UNUSED_PAD src0_sel:DWORD src1_sel:WORD_1
	v_mul_f16_sdwa v48, v47, v14 dst_sel:DWORD dst_unused:UNUSED_PAD src0_sel:DWORD src1_sel:WORD_1
	v_fma_f16 v27, v47, v14, -v27
	v_fma_f16 v3, v14, v3, v48
	v_sub_f16_e32 v27, v45, v27
	s_waitcnt lgkmcnt(2)
	v_sub_f16_e32 v3, v23, v3
	v_fma_f16 v45, v45, 2.0, -v27
	v_fma_f16 v23, v23, 2.0, -v3
	s_waitcnt vmcnt(8)
	v_mul_f16_sdwa v50, v46, v13 dst_sel:DWORD dst_unused:UNUSED_PAD src0_sel:DWORD src1_sel:WORD_1
	v_mul_f16_sdwa v49, v5, v13 dst_sel:DWORD dst_unused:UNUSED_PAD src0_sel:DWORD src1_sel:WORD_1
	v_fma_f16 v5, v13, v5, v50
	v_fma_f16 v14, v46, v13, -v49
	ds_read_u16 v13, v20
	s_waitcnt lgkmcnt(1)
	v_sub_f16_e32 v5, v21, v5
	v_fma_f16 v20, v21, 2.0, -v5
	ds_read_u16 v21, v18 offset:512
	s_waitcnt vmcnt(7)
	v_mul_f16_sdwa v46, v24, v12 dst_sel:DWORD dst_unused:UNUSED_PAD src0_sel:DWORD src1_sel:WORD_1
	v_fma_f16 v46, v42, v12, -v46
	v_mul_f16_sdwa v42, v42, v12 dst_sel:DWORD dst_unused:UNUSED_PAD src0_sel:DWORD src1_sel:WORD_1
	v_fma_f16 v12, v12, v24, v42
	ds_read_u16 v42, v18 offset:480
	v_sub_f16_e32 v46, v43, v46
	v_sub_f16_e32 v12, v9, v12
	v_fma_f16 v43, v43, 2.0, -v46
	s_waitcnt vmcnt(6) lgkmcnt(1)
	v_mul_f16_sdwa v24, v21, v11 dst_sel:DWORD dst_unused:UNUSED_PAD src0_sel:DWORD src1_sel:WORD_1
	v_fma_f16 v24, v40, v11, -v24
	v_mul_f16_sdwa v40, v40, v11 dst_sel:DWORD dst_unused:UNUSED_PAD src0_sel:DWORD src1_sel:WORD_1
	v_fma_f16 v11, v11, v21, v40
	ds_read_u16 v21, v18 offset:448
	v_sub_f16_e32 v24, v41, v24
	v_sub_f16_e32 v11, v7, v11
	v_fma_f16 v41, v41, 2.0, -v24
	s_waitcnt vmcnt(5) lgkmcnt(1)
	v_mul_f16_sdwa v40, v42, v10 dst_sel:DWORD dst_unused:UNUSED_PAD src0_sel:DWORD src1_sel:WORD_1
	v_fma_f16 v40, v38, v10, -v40
	v_mul_f16_sdwa v38, v38, v10 dst_sel:DWORD dst_unused:UNUSED_PAD src0_sel:DWORD src1_sel:WORD_1
	v_fma_f16 v10, v10, v42, v38
	ds_read_u16 v19, v19
	ds_read_u16 v38, v18 offset:320
	ds_read_u16 v42, v18 offset:416
	;; [unrolled: 1-line block ×4, first 2 shown]
	ds_read_u16 v17, v17
	v_sub_f16_e32 v40, v39, v40
	s_waitcnt lgkmcnt(5)
	v_sub_f16_e32 v10, v19, v10
	v_fma_f16 v39, v39, 2.0, -v40
	s_waitcnt vmcnt(4)
	v_mul_f16_sdwa v48, v21, v8 dst_sel:DWORD dst_unused:UNUSED_PAD src0_sel:DWORD src1_sel:WORD_1
	v_fma_f16 v48, v35, v8, -v48
	v_mul_f16_sdwa v35, v35, v8 dst_sel:DWORD dst_unused:UNUSED_PAD src0_sel:DWORD src1_sel:WORD_1
	v_fma_f16 v8, v8, v21, v35
	v_sub_f16_e32 v8, v22, v8
	v_fma_f16 v21, v22, 2.0, -v8
	s_waitcnt vmcnt(3) lgkmcnt(3)
	v_mul_f16_sdwa v22, v42, v6 dst_sel:DWORD dst_unused:UNUSED_PAD src0_sel:DWORD src1_sel:WORD_1
	v_fma_f16 v22, v33, v6, -v22
	v_mul_f16_sdwa v33, v33, v6 dst_sel:DWORD dst_unused:UNUSED_PAD src0_sel:DWORD src1_sel:WORD_1
	v_fma_f16 v6, v6, v42, v33
	v_sub_f16_e32 v22, v32, v22
	v_sub_f16_e32 v6, v13, v6
	v_fma_f16 v32, v32, 2.0, -v22
	s_waitcnt vmcnt(2) lgkmcnt(2)
	v_mul_f16_sdwa v33, v47, v4 dst_sel:DWORD dst_unused:UNUSED_PAD src0_sel:DWORD src1_sel:WORD_1
	v_fma_f16 v33, v31, v4, -v33
	v_mul_f16_sdwa v31, v31, v4 dst_sel:DWORD dst_unused:UNUSED_PAD src0_sel:DWORD src1_sel:WORD_1
	v_fma_f16 v4, v4, v47, v31
	v_sub_f16_e32 v33, v36, v33
	s_waitcnt vmcnt(1) lgkmcnt(1)
	v_mul_f16_sdwa v31, v18, v2 dst_sel:DWORD dst_unused:UNUSED_PAD src0_sel:DWORD src1_sel:WORD_1
	v_fma_f16 v31, v30, v2, -v31
	v_mul_f16_sdwa v30, v30, v2 dst_sel:DWORD dst_unused:UNUSED_PAD src0_sel:DWORD src1_sel:WORD_1
	v_fma_f16 v2, v2, v18, v30
	s_waitcnt vmcnt(0)
	v_mul_f16_sdwa v18, v38, v25 dst_sel:DWORD dst_unused:UNUSED_PAD src0_sel:DWORD src1_sel:WORD_1
	v_fma_f16 v18, v29, v25, -v18
	v_mul_f16_sdwa v29, v29, v25 dst_sel:DWORD dst_unused:UNUSED_PAD src0_sel:DWORD src1_sel:WORD_1
	v_fma_f16 v25, v25, v38, v29
	v_mov_b32_e32 v29, s3
	v_addc_co_u32_e32 v1, vcc, v29, v1, vcc
	v_sub_f16_e32 v4, v26, v4
	v_sub_f16_e32 v31, v34, v31
	;; [unrolled: 1-line block ×3, first 2 shown]
	v_add_co_u32_e32 v0, vcc, v0, v16
	v_fma_f16 v35, v36, 2.0, -v33
	v_fma_f16 v26, v26, 2.0, -v4
	;; [unrolled: 1-line block ×3, first 2 shown]
	v_addc_co_u32_e32 v1, vcc, 0, v1, vcc
	v_pack_b32_f16 v2, v31, v2
	global_store_dword v[0:1], v2, off offset:704
	v_pack_b32_f16 v2, v35, v26
	v_fma_f16 v13, v13, 2.0, -v6
	global_store_dword v[0:1], v2, off offset:128
	v_pack_b32_f16 v2, v33, v4
	v_sub_f16_e32 v48, v37, v48
	global_store_dword v[0:1], v2, off offset:768
	v_pack_b32_f16 v2, v32, v13
	v_fma_f16 v37, v37, 2.0, -v48
	global_store_dword v[0:1], v2, off offset:192
	v_pack_b32_f16 v2, v22, v6
	global_store_dword v[0:1], v2, off offset:832
	v_pack_b32_f16 v2, v37, v21
	v_fma_f16 v19, v19, 2.0, -v10
	global_store_dword v[0:1], v2, off offset:256
	v_pack_b32_f16 v2, v48, v8
	;; [unrolled: 5-line block ×4, first 2 shown]
	v_sub_f16_e32 v14, v44, v14
	global_store_dword v[0:1], v2, off offset:1024
	v_pack_b32_f16 v2, v43, v9
	v_fma_f16 v44, v44, 2.0, -v14
	global_store_dword v[0:1], v2, off offset:448
	v_pack_b32_f16 v2, v46, v12
	v_sub_f16_e32 v18, v28, v18
	s_waitcnt lgkmcnt(0)
	v_sub_f16_e32 v25, v17, v25
	global_store_dword v[0:1], v2, off offset:1088
	v_pack_b32_f16 v2, v44, v20
	v_fma_f16 v28, v28, 2.0, -v18
	v_fma_f16 v17, v17, 2.0, -v25
	global_store_dword v[0:1], v2, off offset:512
	v_pack_b32_f16 v2, v14, v5
	v_fma_f16 v34, v34, 2.0, -v31
	v_pack_b32_f16 v16, v28, v17
	global_store_dword v[0:1], v2, off offset:1152
	v_pack_b32_f16 v2, v45, v23
	global_store_dword v[0:1], v16, off
	v_pack_b32_f16 v16, v18, v25
	v_pack_b32_f16 v15, v34, v15
	global_store_dword v[0:1], v2, off offset:576
	v_pack_b32_f16 v2, v27, v3
	global_store_dword v[0:1], v16, off offset:640
	global_store_dword v[0:1], v15, off offset:64
	global_store_dword v[0:1], v2, off offset:1216
.LBB0_15:
	s_endpgm
	.section	.rodata,"a",@progbits
	.p2align	6, 0x0
	.amdhsa_kernel fft_rtc_fwd_len320_factors_10_4_4_2_wgs_64_tpt_16_halfLds_half_ip_CI_unitstride_sbrr_dirReg
		.amdhsa_group_segment_fixed_size 0
		.amdhsa_private_segment_fixed_size 0
		.amdhsa_kernarg_size 88
		.amdhsa_user_sgpr_count 6
		.amdhsa_user_sgpr_private_segment_buffer 1
		.amdhsa_user_sgpr_dispatch_ptr 0
		.amdhsa_user_sgpr_queue_ptr 0
		.amdhsa_user_sgpr_kernarg_segment_ptr 1
		.amdhsa_user_sgpr_dispatch_id 0
		.amdhsa_user_sgpr_flat_scratch_init 0
		.amdhsa_user_sgpr_private_segment_size 0
		.amdhsa_uses_dynamic_stack 0
		.amdhsa_system_sgpr_private_segment_wavefront_offset 0
		.amdhsa_system_sgpr_workgroup_id_x 1
		.amdhsa_system_sgpr_workgroup_id_y 0
		.amdhsa_system_sgpr_workgroup_id_z 0
		.amdhsa_system_sgpr_workgroup_info 0
		.amdhsa_system_vgpr_workitem_id 0
		.amdhsa_next_free_vgpr 81
		.amdhsa_next_free_sgpr 22
		.amdhsa_reserve_vcc 1
		.amdhsa_reserve_flat_scratch 0
		.amdhsa_float_round_mode_32 0
		.amdhsa_float_round_mode_16_64 0
		.amdhsa_float_denorm_mode_32 3
		.amdhsa_float_denorm_mode_16_64 3
		.amdhsa_dx10_clamp 1
		.amdhsa_ieee_mode 1
		.amdhsa_fp16_overflow 0
		.amdhsa_exception_fp_ieee_invalid_op 0
		.amdhsa_exception_fp_denorm_src 0
		.amdhsa_exception_fp_ieee_div_zero 0
		.amdhsa_exception_fp_ieee_overflow 0
		.amdhsa_exception_fp_ieee_underflow 0
		.amdhsa_exception_fp_ieee_inexact 0
		.amdhsa_exception_int_div_zero 0
	.end_amdhsa_kernel
	.text
.Lfunc_end0:
	.size	fft_rtc_fwd_len320_factors_10_4_4_2_wgs_64_tpt_16_halfLds_half_ip_CI_unitstride_sbrr_dirReg, .Lfunc_end0-fft_rtc_fwd_len320_factors_10_4_4_2_wgs_64_tpt_16_halfLds_half_ip_CI_unitstride_sbrr_dirReg
                                        ; -- End function
	.section	.AMDGPU.csdata,"",@progbits
; Kernel info:
; codeLenInByte = 9252
; NumSgprs: 26
; NumVgprs: 81
; ScratchSize: 0
; MemoryBound: 0
; FloatMode: 240
; IeeeMode: 1
; LDSByteSize: 0 bytes/workgroup (compile time only)
; SGPRBlocks: 3
; VGPRBlocks: 20
; NumSGPRsForWavesPerEU: 26
; NumVGPRsForWavesPerEU: 81
; Occupancy: 3
; WaveLimiterHint : 1
; COMPUTE_PGM_RSRC2:SCRATCH_EN: 0
; COMPUTE_PGM_RSRC2:USER_SGPR: 6
; COMPUTE_PGM_RSRC2:TRAP_HANDLER: 0
; COMPUTE_PGM_RSRC2:TGID_X_EN: 1
; COMPUTE_PGM_RSRC2:TGID_Y_EN: 0
; COMPUTE_PGM_RSRC2:TGID_Z_EN: 0
; COMPUTE_PGM_RSRC2:TIDIG_COMP_CNT: 0
	.type	__hip_cuid_95a6783b68a4a47c,@object ; @__hip_cuid_95a6783b68a4a47c
	.section	.bss,"aw",@nobits
	.globl	__hip_cuid_95a6783b68a4a47c
__hip_cuid_95a6783b68a4a47c:
	.byte	0                               ; 0x0
	.size	__hip_cuid_95a6783b68a4a47c, 1

	.ident	"AMD clang version 19.0.0git (https://github.com/RadeonOpenCompute/llvm-project roc-6.4.0 25133 c7fe45cf4b819c5991fe208aaa96edf142730f1d)"
	.section	".note.GNU-stack","",@progbits
	.addrsig
	.addrsig_sym __hip_cuid_95a6783b68a4a47c
	.amdgpu_metadata
---
amdhsa.kernels:
  - .args:
      - .actual_access:  read_only
        .address_space:  global
        .offset:         0
        .size:           8
        .value_kind:     global_buffer
      - .offset:         8
        .size:           8
        .value_kind:     by_value
      - .actual_access:  read_only
        .address_space:  global
        .offset:         16
        .size:           8
        .value_kind:     global_buffer
      - .actual_access:  read_only
        .address_space:  global
        .offset:         24
        .size:           8
        .value_kind:     global_buffer
      - .offset:         32
        .size:           8
        .value_kind:     by_value
      - .actual_access:  read_only
        .address_space:  global
        .offset:         40
        .size:           8
        .value_kind:     global_buffer
      - .actual_access:  read_only
        .address_space:  global
        .offset:         48
        .size:           8
        .value_kind:     global_buffer
      - .offset:         56
        .size:           4
        .value_kind:     by_value
      - .actual_access:  read_only
        .address_space:  global
        .offset:         64
        .size:           8
        .value_kind:     global_buffer
      - .actual_access:  read_only
        .address_space:  global
        .offset:         72
        .size:           8
        .value_kind:     global_buffer
      - .address_space:  global
        .offset:         80
        .size:           8
        .value_kind:     global_buffer
    .group_segment_fixed_size: 0
    .kernarg_segment_align: 8
    .kernarg_segment_size: 88
    .language:       OpenCL C
    .language_version:
      - 2
      - 0
    .max_flat_workgroup_size: 64
    .name:           fft_rtc_fwd_len320_factors_10_4_4_2_wgs_64_tpt_16_halfLds_half_ip_CI_unitstride_sbrr_dirReg
    .private_segment_fixed_size: 0
    .sgpr_count:     26
    .sgpr_spill_count: 0
    .symbol:         fft_rtc_fwd_len320_factors_10_4_4_2_wgs_64_tpt_16_halfLds_half_ip_CI_unitstride_sbrr_dirReg.kd
    .uniform_work_group_size: 1
    .uses_dynamic_stack: false
    .vgpr_count:     81
    .vgpr_spill_count: 0
    .wavefront_size: 64
amdhsa.target:   amdgcn-amd-amdhsa--gfx906
amdhsa.version:
  - 1
  - 2
...

	.end_amdgpu_metadata
